;; amdgpu-corpus repo=zjin-lcf/HeCBench kind=compiled arch=gfx906 opt=O3
	.amdgcn_target "amdgcn-amd-amdhsa--gfx906"
	.amdhsa_code_object_version 6
	.text
	.protected	_Z17scatterAdd_kernelPKiPKfPfiii ; -- Begin function _Z17scatterAdd_kernelPKiPKfPfiii
	.globl	_Z17scatterAdd_kernelPKiPKfPfiii
	.p2align	8
	.type	_Z17scatterAdd_kernelPKiPKfPfiii,@function
_Z17scatterAdd_kernelPKiPKfPfiii:       ; @_Z17scatterAdd_kernelPKiPKfPfiii
; %bb.0:
	s_load_dwordx4 s[0:3], s[4:5], 0x18
	v_lshlrev_b32_e32 v2, 6, v1
	v_add_u32_e32 v6, v2, v0
	s_waitcnt lgkmcnt(0)
	s_mul_i32 s18, s2, s1
	s_cmp_gt_i32 s18, 0
	s_cselect_b64 s[14:15], -1, 0
	s_cmp_lt_i32 s18, 1
	s_mov_b32 s1, 0
	s_cbranch_scc1 .LBB0_25
; %bb.1:
	s_add_i32 s7, s18, -1
	s_lshr_b32 s3, s7, 9
	s_add_i32 s3, s3, 1
	s_cmpk_lt_u32 s7, 0xe00
	s_mov_b32 s7, 0
	s_cbranch_scc1 .LBB0_20
; %bb.2:
	v_lshlrev_b32_e32 v3, 8, v1
	v_lshlrev_b32_e32 v4, 2, v0
	s_and_b32 s10, s3, 0xfffff8
	v_add3_u32 v3, v3, v4, 0
	v_mov_b32_e32 v4, 0
	s_branch .LBB0_4
.LBB0_3:                                ;   in Loop: Header=BB0_4 Depth=1
	s_or_b64 exec, exec, s[8:9]
	s_addk_i32 s7, 0x1000
	s_add_i32 s10, s10, -8
	s_cmp_eq_u32 s10, 0
	v_add_u32_e32 v3, 0x4000, v3
	s_cbranch_scc1 .LBB0_20
.LBB0_4:                                ; =>This Inner Loop Header: Depth=1
	v_add_u32_e32 v5, s7, v6
	v_cmp_gt_i32_e32 vcc, s18, v5
	s_and_saveexec_b64 s[8:9], vcc
; %bb.5:                                ;   in Loop: Header=BB0_4 Depth=1
	ds_write_b32 v3, v4
; %bb.6:                                ;   in Loop: Header=BB0_4 Depth=1
	s_or_b64 exec, exec, s[8:9]
	v_add_u32_e32 v7, 0x200, v5
	v_cmp_gt_i32_e32 vcc, s18, v7
	s_and_saveexec_b64 s[8:9], vcc
; %bb.7:                                ;   in Loop: Header=BB0_4 Depth=1
	ds_write_b32 v3, v4 offset:2048
; %bb.8:                                ;   in Loop: Header=BB0_4 Depth=1
	s_or_b64 exec, exec, s[8:9]
	v_add_u32_e32 v7, 0x400, v5
	v_cmp_gt_i32_e32 vcc, s18, v7
	s_and_saveexec_b64 s[8:9], vcc
; %bb.9:                                ;   in Loop: Header=BB0_4 Depth=1
	ds_write_b32 v3, v4 offset:4096
; %bb.10:                               ;   in Loop: Header=BB0_4 Depth=1
	s_or_b64 exec, exec, s[8:9]
	v_add_u32_e32 v7, 0x600, v5
	v_cmp_gt_i32_e32 vcc, s18, v7
	s_and_saveexec_b64 s[8:9], vcc
; %bb.11:                               ;   in Loop: Header=BB0_4 Depth=1
	ds_write_b32 v3, v4 offset:6144
; %bb.12:                               ;   in Loop: Header=BB0_4 Depth=1
	s_or_b64 exec, exec, s[8:9]
	v_add_u32_e32 v7, 0x800, v5
	v_cmp_gt_i32_e32 vcc, s18, v7
	s_and_saveexec_b64 s[8:9], vcc
; %bb.13:                               ;   in Loop: Header=BB0_4 Depth=1
	;; [unrolled: 7-line block ×4, first 2 shown]
	ds_write_b32 v3, v4 offset:12288
; %bb.18:                               ;   in Loop: Header=BB0_4 Depth=1
	s_or_b64 exec, exec, s[8:9]
	v_add_u32_e32 v5, 0xe00, v5
	v_cmp_gt_i32_e32 vcc, s18, v5
	s_and_saveexec_b64 s[8:9], vcc
	s_cbranch_execz .LBB0_3
; %bb.19:                               ;   in Loop: Header=BB0_4 Depth=1
	ds_write_b32 v3, v4 offset:14336
	s_branch .LBB0_3
.LBB0_20:
	s_and_b32 s3, s3, 7
	s_cmp_eq_u32 s3, 0
	s_cbranch_scc1 .LBB0_25
; %bb.21:
	v_add3_u32 v2, v0, s7, v2
	v_lshl_add_u32 v3, v2, 2, 0
	s_lshl_b32 s3, s3, 2
	v_mov_b32_e32 v4, 0
	s_branch .LBB0_23
.LBB0_22:                               ;   in Loop: Header=BB0_23 Depth=1
	s_or_b64 exec, exec, s[8:9]
	s_add_i32 s3, s3, -4
	v_add_u32_e32 v3, 0x800, v3
	s_cmp_lg_u32 s3, 0
	v_add_u32_e32 v2, 0x200, v2
	s_cbranch_scc0 .LBB0_25
.LBB0_23:                               ; =>This Inner Loop Header: Depth=1
	v_cmp_gt_i32_e32 vcc, s18, v2
	s_and_saveexec_b64 s[8:9], vcc
	s_cbranch_execz .LBB0_22
; %bb.24:                               ;   in Loop: Header=BB0_23 Depth=1
	ds_write_b32 v3, v4
	s_branch .LBB0_22
.LBB0_25:
	s_load_dwordx4 s[8:11], s[4:5], 0x0
	s_load_dwordx2 s[12:13], s[4:5], 0x10
	s_lshl_b32 s4, s18, 2
	s_lshl_b32 s3, s6, 13
	s_add_i32 s19, s4, 0
	s_cmp_lt_i32 s2, 1
	s_cselect_b64 s[4:5], -1, 0
	v_lshl_add_u32 v7, v6, 2, s19
	v_lshl_add_u32 v2, v0, 2, 0
	s_lshl_b32 s20, s2, 2
	s_xor_b64 s[4:5], s[4:5], -1
	s_waitcnt lgkmcnt(0)
	s_barrier
	s_branch .LBB0_27
.LBB0_26:                               ;   in Loop: Header=BB0_27 Depth=1
	s_add_i32 s6, s1, 0x200
	s_cmpk_gt_u32 s1, 0x1dff
	s_mov_b32 s1, s6
	s_waitcnt lgkmcnt(0)
	s_barrier
	s_cbranch_scc1 .LBB0_41
.LBB0_27:                               ; =>This Loop Header: Depth=1
                                        ;     Child Loop BB0_31 Depth 2
                                        ;       Child Loop BB0_34 Depth 3
                                        ;       Child Loop BB0_39 Depth 3
	s_add_i32 s21, s1, s3
	v_add_u32_e32 v3, s21, v6
	v_cmp_gt_i32_e32 vcc, s0, v3
	s_and_saveexec_b64 s[6:7], vcc
	s_cbranch_execz .LBB0_29
; %bb.28:                               ;   in Loop: Header=BB0_27 Depth=1
	v_ashrrev_i32_e32 v4, 31, v3
	v_lshlrev_b64 v[3:4], 2, v[3:4]
	v_mov_b32_e32 v5, s9
	v_add_co_u32_e32 v3, vcc, s8, v3
	v_addc_co_u32_e32 v4, vcc, v5, v4, vcc
	global_load_dword v3, v[3:4], off
	s_waitcnt vmcnt(0)
	ds_write_b32 v7, v3
.LBB0_29:                               ;   in Loop: Header=BB0_27 Depth=1
	s_or_b64 exec, exec, s[6:7]
	v_add_u32_e32 v8, s21, v1
	s_mov_b32 s22, 0
	s_waitcnt lgkmcnt(0)
	s_barrier
	s_branch .LBB0_31
.LBB0_30:                               ;   in Loop: Header=BB0_31 Depth=2
	s_or_b64 exec, exec, s[6:7]
	s_add_i32 s22, s22, 16
	s_cmpk_gt_u32 s23, 0x1f7
	s_cbranch_scc1 .LBB0_26
.LBB0_31:                               ;   Parent Loop BB0_27 Depth=1
                                        ; =>  This Loop Header: Depth=2
                                        ;       Child Loop BB0_34 Depth 3
                                        ;       Child Loop BB0_39 Depth 3
	v_add_u32_e32 v4, s22, v1
	v_add_u32_e32 v3, s21, v4
	v_cmp_gt_i32_e32 vcc, s0, v3
	s_and_b64 s[16:17], vcc, s[4:5]
	v_lshl_add_u32 v9, v4, 2, s19
	s_and_saveexec_b64 s[6:7], s[16:17]
	s_cbranch_execz .LBB0_36
; %bb.32:                               ;   in Loop: Header=BB0_31 Depth=2
	ds_read_b32 v5, v9
	v_mad_i64_i32 v[3:4], s[16:17], v3, s2, 0
	v_mov_b32_e32 v12, s11
	s_mov_b32 s23, 0
	v_lshlrev_b64 v[10:11], 2, v[3:4]
	s_waitcnt lgkmcnt(0)
	v_mad_u64_u32 v[3:4], s[16:17], s20, v5, v[2:3]
	v_add_co_u32_e32 v10, vcc, s10, v10
	v_addc_co_u32_e32 v11, vcc, v12, v11, vcc
	s_branch .LBB0_34
.LBB0_33:                               ;   in Loop: Header=BB0_34 Depth=3
	s_or_b64 exec, exec, s[16:17]
	s_add_i32 s23, s23, 64
	s_cmp_lt_i32 s23, s2
	v_add_u32_e32 v3, 0x100, v3
	s_cbranch_scc0 .LBB0_36
.LBB0_34:                               ;   Parent Loop BB0_27 Depth=1
                                        ;     Parent Loop BB0_31 Depth=2
                                        ; =>    This Inner Loop Header: Depth=3
	v_add_u32_e32 v4, s23, v0
	v_cmp_gt_i32_e32 vcc, s2, v4
	s_and_saveexec_b64 s[16:17], vcc
	s_cbranch_execz .LBB0_33
; %bb.35:                               ;   in Loop: Header=BB0_34 Depth=3
	v_ashrrev_i32_e32 v5, 31, v4
	v_lshlrev_b64 v[4:5], 2, v[4:5]
	v_add_co_u32_e32 v4, vcc, v10, v4
	v_addc_co_u32_e32 v5, vcc, v11, v5, vcc
	global_load_dword v4, v[4:5], off
	s_waitcnt vmcnt(0)
	ds_add_f32 v3, v4
	s_branch .LBB0_33
.LBB0_36:                               ;   in Loop: Header=BB0_31 Depth=2
	s_or_b64 exec, exec, s[6:7]
	s_or_b32 s23, s22, 8
	v_add_u32_e32 v3, s23, v8
	v_cmp_gt_i32_e32 vcc, s0, v3
	s_and_b64 s[16:17], vcc, s[4:5]
	s_and_saveexec_b64 s[6:7], s[16:17]
	s_cbranch_execz .LBB0_30
; %bb.37:                               ;   in Loop: Header=BB0_31 Depth=2
	ds_read_b32 v5, v9 offset:32
	v_mad_i64_i32 v[3:4], s[16:17], v3, s2, 0
	v_mov_b32_e32 v11, s11
	s_mov_b32 s24, 0
	v_lshlrev_b64 v[9:10], 2, v[3:4]
	s_waitcnt lgkmcnt(0)
	v_mad_u64_u32 v[3:4], s[16:17], s20, v5, v[2:3]
	v_add_co_u32_e32 v9, vcc, s10, v9
	v_addc_co_u32_e32 v10, vcc, v11, v10, vcc
	s_branch .LBB0_39
.LBB0_38:                               ;   in Loop: Header=BB0_39 Depth=3
	s_or_b64 exec, exec, s[16:17]
	s_add_i32 s24, s24, 64
	s_cmp_lt_i32 s24, s2
	v_add_u32_e32 v3, 0x100, v3
	s_cbranch_scc0 .LBB0_30
.LBB0_39:                               ;   Parent Loop BB0_27 Depth=1
                                        ;     Parent Loop BB0_31 Depth=2
                                        ; =>    This Inner Loop Header: Depth=3
	v_add_u32_e32 v4, s24, v0
	v_cmp_gt_i32_e32 vcc, s2, v4
	s_and_saveexec_b64 s[16:17], vcc
	s_cbranch_execz .LBB0_38
; %bb.40:                               ;   in Loop: Header=BB0_39 Depth=3
	v_ashrrev_i32_e32 v5, 31, v4
	v_lshlrev_b64 v[4:5], 2, v[4:5]
	v_add_co_u32_e32 v4, vcc, v9, v4
	v_addc_co_u32_e32 v5, vcc, v10, v5, vcc
	global_load_dword v4, v[4:5], off
	s_waitcnt vmcnt(0)
	ds_add_f32 v3, v4
	s_branch .LBB0_38
.LBB0_41:
	s_andn2_b64 vcc, exec, s[14:15]
	s_cbranch_vccnz .LBB0_75
; %bb.42:
	s_add_i32 s0, s18, -1
	s_lshr_b32 s5, s0, 9
	s_add_i32 s5, s5, 1
	s_cmpk_lt_u32 s0, 0xe00
	s_mov_b32 s4, 0
	s_cbranch_scc1 .LBB0_69
; %bb.43:
	s_and_b32 s6, s5, 0xfffff8
	v_mov_b32_e32 v1, 0
	s_mov_b32 s7, 0
	s_branch .LBB0_45
.LBB0_44:                               ;   in Loop: Header=BB0_45 Depth=1
	s_or_b64 exec, exec, s[0:1]
	s_addk_i32 s4, 0x1000
	s_add_i32 s7, s7, 8
	s_cmp_eq_u32 s7, s6
	s_cbranch_scc1 .LBB0_69
.LBB0_45:                               ; =>This Loop Header: Depth=1
                                        ;     Child Loop BB0_47 Depth 2
                                        ;     Child Loop BB0_50 Depth 2
	;; [unrolled: 1-line block ×8, first 2 shown]
	v_add_u32_e32 v0, s4, v6
	v_cmp_gt_i32_e32 vcc, s18, v0
	v_lshl_add_u32 v7, v0, 2, 0
	s_and_saveexec_b64 s[0:1], vcc
	s_cbranch_execz .LBB0_48
; %bb.46:                               ;   in Loop: Header=BB0_45 Depth=1
	v_lshlrev_b64 v[2:3], 2, v[0:1]
	v_mov_b32_e32 v4, s13
	v_add_co_u32_e32 v2, vcc, s12, v2
	v_addc_co_u32_e32 v3, vcc, v4, v3, vcc
	global_load_dword v5, v[2:3], off
	ds_read_b32 v8, v7
	s_mov_b64 s[2:3], 0
.LBB0_47:                               ;   Parent Loop BB0_45 Depth=1
                                        ; =>  This Inner Loop Header: Depth=2
	s_waitcnt vmcnt(0) lgkmcnt(0)
	v_add_f32_e32 v4, v5, v8
	global_atomic_cmpswap v4, v[2:3], v[4:5], off glc
	s_waitcnt vmcnt(0)
	v_cmp_eq_u32_e32 vcc, v4, v5
	s_or_b64 s[2:3], vcc, s[2:3]
	v_mov_b32_e32 v5, v4
	s_andn2_b64 exec, exec, s[2:3]
	s_cbranch_execnz .LBB0_47
.LBB0_48:                               ;   in Loop: Header=BB0_45 Depth=1
	s_or_b64 exec, exec, s[0:1]
	v_add_u32_e32 v2, 0x200, v0
	v_cmp_gt_i32_e32 vcc, s18, v2
	s_and_saveexec_b64 s[0:1], vcc
	s_cbranch_execz .LBB0_51
; %bb.49:                               ;   in Loop: Header=BB0_45 Depth=1
	v_lshlrev_b64 v[2:3], 2, v[0:1]
	v_mov_b32_e32 v4, s13
	v_add_co_u32_e32 v2, vcc, s12, v2
	v_addc_co_u32_e32 v3, vcc, v4, v3, vcc
	global_load_dword v5, v[2:3], off offset:2048
	ds_read_b32 v8, v7 offset:2048
	s_mov_b64 s[2:3], 0
.LBB0_50:                               ;   Parent Loop BB0_45 Depth=1
                                        ; =>  This Inner Loop Header: Depth=2
	s_waitcnt vmcnt(0) lgkmcnt(0)
	v_add_f32_e32 v4, v5, v8
	global_atomic_cmpswap v4, v[2:3], v[4:5], off offset:2048 glc
	s_waitcnt vmcnt(0)
	v_cmp_eq_u32_e32 vcc, v4, v5
	s_or_b64 s[2:3], vcc, s[2:3]
	v_mov_b32_e32 v5, v4
	s_andn2_b64 exec, exec, s[2:3]
	s_cbranch_execnz .LBB0_50
.LBB0_51:                               ;   in Loop: Header=BB0_45 Depth=1
	s_or_b64 exec, exec, s[0:1]
	v_add_u32_e32 v2, 0x400, v0
	v_cmp_gt_i32_e32 vcc, s18, v2
	s_and_saveexec_b64 s[0:1], vcc
	s_cbranch_execz .LBB0_54
; %bb.52:                               ;   in Loop: Header=BB0_45 Depth=1
	v_mov_b32_e32 v3, v1
	v_lshlrev_b64 v[2:3], 2, v[2:3]
	v_mov_b32_e32 v4, s13
	v_add_co_u32_e32 v2, vcc, s12, v2
	v_addc_co_u32_e32 v3, vcc, v4, v3, vcc
	global_load_dword v5, v[2:3], off
	ds_read_b32 v8, v7 offset:4096
	s_mov_b64 s[2:3], 0
.LBB0_53:                               ;   Parent Loop BB0_45 Depth=1
                                        ; =>  This Inner Loop Header: Depth=2
	s_waitcnt vmcnt(0) lgkmcnt(0)
	v_add_f32_e32 v4, v5, v8
	global_atomic_cmpswap v4, v[2:3], v[4:5], off glc
	s_waitcnt vmcnt(0)
	v_cmp_eq_u32_e32 vcc, v4, v5
	s_or_b64 s[2:3], vcc, s[2:3]
	v_mov_b32_e32 v5, v4
	s_andn2_b64 exec, exec, s[2:3]
	s_cbranch_execnz .LBB0_53
.LBB0_54:                               ;   in Loop: Header=BB0_45 Depth=1
	s_or_b64 exec, exec, s[0:1]
	v_add_u32_e32 v2, 0x600, v0
	v_cmp_gt_i32_e32 vcc, s18, v2
	s_and_saveexec_b64 s[0:1], vcc
	s_cbranch_execz .LBB0_57
; %bb.55:                               ;   in Loop: Header=BB0_45 Depth=1
	v_mov_b32_e32 v3, v1
	v_lshlrev_b64 v[2:3], 2, v[2:3]
	v_mov_b32_e32 v4, s13
	v_add_co_u32_e32 v2, vcc, s12, v2
	v_addc_co_u32_e32 v3, vcc, v4, v3, vcc
	global_load_dword v5, v[2:3], off
	ds_read_b32 v8, v7 offset:6144
	s_mov_b64 s[2:3], 0
.LBB0_56:                               ;   Parent Loop BB0_45 Depth=1
                                        ; =>  This Inner Loop Header: Depth=2
	s_waitcnt vmcnt(0) lgkmcnt(0)
	v_add_f32_e32 v4, v5, v8
	global_atomic_cmpswap v4, v[2:3], v[4:5], off glc
	s_waitcnt vmcnt(0)
	v_cmp_eq_u32_e32 vcc, v4, v5
	s_or_b64 s[2:3], vcc, s[2:3]
	v_mov_b32_e32 v5, v4
	s_andn2_b64 exec, exec, s[2:3]
	s_cbranch_execnz .LBB0_56
.LBB0_57:                               ;   in Loop: Header=BB0_45 Depth=1
	;; [unrolled: 26-line block ×5, first 2 shown]
	s_or_b64 exec, exec, s[0:1]
	v_add_u32_e32 v0, 0xe00, v0
	v_cmp_gt_i32_e32 vcc, s18, v0
	s_and_saveexec_b64 s[0:1], vcc
	s_cbranch_execz .LBB0_44
; %bb.67:                               ;   in Loop: Header=BB0_45 Depth=1
	v_lshlrev_b64 v[2:3], 2, v[0:1]
	v_mov_b32_e32 v0, s13
	v_add_co_u32_e32 v2, vcc, s12, v2
	v_addc_co_u32_e32 v3, vcc, v0, v3, vcc
	global_load_dword v5, v[2:3], off
	ds_read_b32 v0, v7 offset:14336
	s_mov_b64 s[2:3], 0
.LBB0_68:                               ;   Parent Loop BB0_45 Depth=1
                                        ; =>  This Inner Loop Header: Depth=2
	s_waitcnt vmcnt(0) lgkmcnt(0)
	v_add_f32_e32 v4, v5, v0
	global_atomic_cmpswap v4, v[2:3], v[4:5], off glc
	s_waitcnt vmcnt(0)
	v_cmp_eq_u32_e32 vcc, v4, v5
	s_or_b64 s[2:3], vcc, s[2:3]
	v_mov_b32_e32 v5, v4
	s_andn2_b64 exec, exec, s[2:3]
	s_cbranch_execnz .LBB0_68
	s_branch .LBB0_44
.LBB0_69:
	s_and_b32 s5, s5, 7
	s_cmp_eq_u32 s5, 0
	s_mov_b32 s6, 0
	s_cbranch_scc1 .LBB0_75
; %bb.70:
	v_mov_b32_e32 v1, 0
	s_branch .LBB0_72
.LBB0_71:                               ;   in Loop: Header=BB0_72 Depth=1
	s_or_b64 exec, exec, s[0:1]
	s_addk_i32 s4, 0x200
	s_add_i32 s6, s6, 1
	s_cmp_lg_u32 s6, s5
	s_cbranch_scc0 .LBB0_75
.LBB0_72:                               ; =>This Loop Header: Depth=1
                                        ;     Child Loop BB0_74 Depth 2
	v_add_u32_e32 v0, s4, v6
	v_cmp_gt_i32_e32 vcc, s18, v0
	s_and_saveexec_b64 s[0:1], vcc
	s_cbranch_execz .LBB0_71
; %bb.73:                               ;   in Loop: Header=BB0_72 Depth=1
	v_lshlrev_b64 v[2:3], 2, v[0:1]
	v_mov_b32_e32 v4, s13
	v_add_co_u32_e32 v2, vcc, s12, v2
	v_addc_co_u32_e32 v3, vcc, v4, v3, vcc
	global_load_dword v5, v[2:3], off
	v_lshl_add_u32 v0, v0, 2, 0
	ds_read_b32 v0, v0
	s_mov_b64 s[2:3], 0
.LBB0_74:                               ;   Parent Loop BB0_72 Depth=1
                                        ; =>  This Inner Loop Header: Depth=2
	s_waitcnt vmcnt(0) lgkmcnt(0)
	v_add_f32_e32 v4, v5, v0
	global_atomic_cmpswap v4, v[2:3], v[4:5], off glc
	s_waitcnt vmcnt(0)
	v_cmp_eq_u32_e32 vcc, v4, v5
	s_or_b64 s[2:3], vcc, s[2:3]
	v_mov_b32_e32 v5, v4
	s_andn2_b64 exec, exec, s[2:3]
	s_cbranch_execnz .LBB0_74
	s_branch .LBB0_71
.LBB0_75:
	s_endpgm
	.section	.rodata,"a",@progbits
	.p2align	6, 0x0
	.amdhsa_kernel _Z17scatterAdd_kernelPKiPKfPfiii
		.amdhsa_group_segment_fixed_size 0
		.amdhsa_private_segment_fixed_size 0
		.amdhsa_kernarg_size 36
		.amdhsa_user_sgpr_count 6
		.amdhsa_user_sgpr_private_segment_buffer 1
		.amdhsa_user_sgpr_dispatch_ptr 0
		.amdhsa_user_sgpr_queue_ptr 0
		.amdhsa_user_sgpr_kernarg_segment_ptr 1
		.amdhsa_user_sgpr_dispatch_id 0
		.amdhsa_user_sgpr_flat_scratch_init 0
		.amdhsa_user_sgpr_private_segment_size 0
		.amdhsa_uses_dynamic_stack 0
		.amdhsa_system_sgpr_private_segment_wavefront_offset 0
		.amdhsa_system_sgpr_workgroup_id_x 1
		.amdhsa_system_sgpr_workgroup_id_y 0
		.amdhsa_system_sgpr_workgroup_id_z 0
		.amdhsa_system_sgpr_workgroup_info 0
		.amdhsa_system_vgpr_workitem_id 1
		.amdhsa_next_free_vgpr 13
		.amdhsa_next_free_sgpr 25
		.amdhsa_reserve_vcc 1
		.amdhsa_reserve_flat_scratch 0
		.amdhsa_float_round_mode_32 0
		.amdhsa_float_round_mode_16_64 0
		.amdhsa_float_denorm_mode_32 3
		.amdhsa_float_denorm_mode_16_64 3
		.amdhsa_dx10_clamp 1
		.amdhsa_ieee_mode 1
		.amdhsa_fp16_overflow 0
		.amdhsa_exception_fp_ieee_invalid_op 0
		.amdhsa_exception_fp_denorm_src 0
		.amdhsa_exception_fp_ieee_div_zero 0
		.amdhsa_exception_fp_ieee_overflow 0
		.amdhsa_exception_fp_ieee_underflow 0
		.amdhsa_exception_fp_ieee_inexact 0
		.amdhsa_exception_int_div_zero 0
	.end_amdhsa_kernel
	.text
.Lfunc_end0:
	.size	_Z17scatterAdd_kernelPKiPKfPfiii, .Lfunc_end0-_Z17scatterAdd_kernelPKiPKfPfiii
                                        ; -- End function
	.set _Z17scatterAdd_kernelPKiPKfPfiii.num_vgpr, 13
	.set _Z17scatterAdd_kernelPKiPKfPfiii.num_agpr, 0
	.set _Z17scatterAdd_kernelPKiPKfPfiii.numbered_sgpr, 25
	.set _Z17scatterAdd_kernelPKiPKfPfiii.num_named_barrier, 0
	.set _Z17scatterAdd_kernelPKiPKfPfiii.private_seg_size, 0
	.set _Z17scatterAdd_kernelPKiPKfPfiii.uses_vcc, 1
	.set _Z17scatterAdd_kernelPKiPKfPfiii.uses_flat_scratch, 0
	.set _Z17scatterAdd_kernelPKiPKfPfiii.has_dyn_sized_stack, 0
	.set _Z17scatterAdd_kernelPKiPKfPfiii.has_recursion, 0
	.set _Z17scatterAdd_kernelPKiPKfPfiii.has_indirect_call, 0
	.section	.AMDGPU.csdata,"",@progbits
; Kernel info:
; codeLenInByte = 2076
; TotalNumSgprs: 29
; NumVgprs: 13
; ScratchSize: 0
; MemoryBound: 0
; FloatMode: 240
; IeeeMode: 1
; LDSByteSize: 0 bytes/workgroup (compile time only)
; SGPRBlocks: 3
; VGPRBlocks: 3
; NumSGPRsForWavesPerEU: 29
; NumVGPRsForWavesPerEU: 13
; Occupancy: 10
; WaveLimiterHint : 0
; COMPUTE_PGM_RSRC2:SCRATCH_EN: 0
; COMPUTE_PGM_RSRC2:USER_SGPR: 6
; COMPUTE_PGM_RSRC2:TRAP_HANDLER: 0
; COMPUTE_PGM_RSRC2:TGID_X_EN: 1
; COMPUTE_PGM_RSRC2:TGID_Y_EN: 0
; COMPUTE_PGM_RSRC2:TGID_Z_EN: 0
; COMPUTE_PGM_RSRC2:TIDIG_COMP_CNT: 1
	.text
	.protected	_Z18scatterAdd2_kernelPKiPKfPfiii ; -- Begin function _Z18scatterAdd2_kernelPKiPKfPfiii
	.globl	_Z18scatterAdd2_kernelPKiPKfPfiii
	.p2align	8
	.type	_Z18scatterAdd2_kernelPKiPKfPfiii,@function
_Z18scatterAdd2_kernelPKiPKfPfiii:      ; @_Z18scatterAdd2_kernelPKiPKfPfiii
; %bb.0:
	s_load_dwordx4 s[8:11], s[4:5], 0x18
	v_lshl_add_u32 v2, v1, 6, v0
	v_lshlrev_b32_e32 v3, 2, v0
                                        ; implicit-def: $vgpr5
	s_waitcnt lgkmcnt(0)
	s_mul_i32 s9, s10, s9
	v_cmp_gt_i32_e64 s[0:1], s9, v2
	v_cmp_le_i32_e32 vcc, s9, v2
	s_and_saveexec_b64 s[2:3], vcc
	s_xor_b64 s[2:3], exec, s[2:3]
; %bb.1:
	v_lshlrev_b32_e32 v5, 2, v0
; %bb.2:
	s_andn2_saveexec_b64 s[2:3], s[2:3]
	s_cbranch_execz .LBB1_6
; %bb.3:
	v_lshlrev_b32_e32 v4, 8, v1
	v_add3_u32 v4, v4, v3, 0
	s_mov_b64 s[12:13], 0
	v_mov_b32_e32 v5, 0
	v_mov_b32_e32 v6, v2
.LBB1_4:                                ; =>This Inner Loop Header: Depth=1
	v_add_u32_e32 v6, 0x200, v6
	v_cmp_le_i32_e32 vcc, s9, v6
	ds_write_b32 v4, v5
	s_or_b64 s[12:13], vcc, s[12:13]
	v_add_u32_e32 v4, 0x800, v4
	s_andn2_b64 exec, exec, s[12:13]
	s_cbranch_execnz .LBB1_4
; %bb.5:
	s_or_b64 exec, exec, s[12:13]
	v_mov_b32_e32 v5, v3
.LBB1_6:
	s_or_b64 exec, exec, s[2:3]
	s_load_dwordx4 s[12:15], s[4:5], 0x0
	s_load_dwordx2 s[16:17], s[4:5], 0x10
	s_lshl_b32 s2, s9, 2
	s_lshl_b32 s18, s6, 13
	s_add_i32 s19, s2, 0
	s_waitcnt lgkmcnt(0)
	v_mov_b32_e32 v4, s15
	v_add_co_u32_e64 v3, s[2:3], s14, v3
	v_cmp_le_i32_e32 vcc, s10, v0
	s_ashr_i32 s11, s10, 31
	v_addc_co_u32_e64 v4, s[2:3], 0, v4, s[2:3]
	v_or_b32_e32 v11, s18, v1
	s_mov_b32 s20, 0
	v_lshl_add_u32 v10, v2, 2, s19
	s_lshl_b64 s[2:3], s[10:11], 2
	v_add_u32_e32 v5, 0, v5
	s_lshl_b32 s11, s10, 2
	v_add_u32_e32 v12, 8, v11
	s_xor_b64 s[4:5], vcc, -1
	s_branch .LBB1_8
.LBB1_7:                                ;   in Loop: Header=BB1_8 Depth=1
	s_add_i32 s6, s20, 0x200
	v_add_u32_e32 v11, 0x200, v11
	v_add_u32_e32 v12, 0x200, v12
	s_cmpk_gt_u32 s20, 0x1dff
	s_mov_b32 s20, s6
	s_waitcnt lgkmcnt(0)
	s_barrier
	s_cbranch_scc1 .LBB1_18
.LBB1_8:                                ; =>This Loop Header: Depth=1
                                        ;     Child Loop BB1_12 Depth 2
                                        ;       Child Loop BB1_14 Depth 3
                                        ;       Child Loop BB1_17 Depth 3
	s_add_i32 s21, s20, s18
	v_add_u32_e32 v6, s21, v2
	v_cmp_gt_i32_e32 vcc, s8, v6
	s_and_saveexec_b64 s[6:7], vcc
	s_cbranch_execz .LBB1_10
; %bb.9:                                ;   in Loop: Header=BB1_8 Depth=1
	v_ashrrev_i32_e32 v7, 31, v6
	v_lshlrev_b64 v[6:7], 2, v[6:7]
	v_mov_b32_e32 v8, s13
	v_add_co_u32_e32 v6, vcc, s12, v6
	v_addc_co_u32_e32 v7, vcc, v8, v7, vcc
	global_load_dword v6, v[6:7], off
	s_waitcnt vmcnt(0)
	ds_write_b32 v10, v6
.LBB1_10:                               ;   in Loop: Header=BB1_8 Depth=1
	s_or_b64 exec, exec, s[6:7]
	v_add_u32_e32 v13, s21, v1
	s_mov_b32 s22, 0
	v_mov_b32_e32 v14, v12
	v_mov_b32_e32 v15, v11
	s_waitcnt lgkmcnt(0)
	s_barrier
	s_branch .LBB1_12
.LBB1_11:                               ;   in Loop: Header=BB1_12 Depth=2
	s_or_b64 exec, exec, s[6:7]
	s_add_i32 s22, s22, 16
	v_add_u32_e32 v15, 16, v15
	s_cmpk_gt_u32 s23, 0x1f7
	v_add_u32_e32 v14, 16, v14
	s_cbranch_scc1 .LBB1_7
.LBB1_12:                               ;   Parent Loop BB1_8 Depth=1
                                        ; =>  This Loop Header: Depth=2
                                        ;       Child Loop BB1_14 Depth 3
                                        ;       Child Loop BB1_17 Depth 3
	v_add_u32_e32 v6, s22, v1
	v_add_u32_e32 v7, s21, v6
	v_cmp_gt_i32_e32 vcc, s8, v7
	s_and_b64 s[14:15], vcc, s[4:5]
	v_lshl_add_u32 v16, v6, 2, s19
	s_and_saveexec_b64 s[6:7], s[14:15]
	s_cbranch_execz .LBB1_15
; %bb.13:                               ;   in Loop: Header=BB1_12 Depth=2
	ds_read_b32 v9, v16
	v_mad_u64_u32 v[6:7], s[14:15], s2, v15, v[3:4]
	v_ashrrev_i32_e32 v8, 31, v15
	v_mul_lo_u32 v17, s3, v15
	v_mul_lo_u32 v18, s2, v8
	s_waitcnt lgkmcnt(0)
	v_mad_u64_u32 v[8:9], s[14:15], s11, v9, v[5:6]
	s_mov_b64 s[14:15], 0
	v_add3_u32 v7, v17, v7, v18
	v_mov_b32_e32 v9, v0
.LBB1_14:                               ;   Parent Loop BB1_8 Depth=1
                                        ;     Parent Loop BB1_12 Depth=2
                                        ; =>    This Inner Loop Header: Depth=3
	global_load_dword v17, v[6:7], off
	v_add_co_u32_e32 v6, vcc, 0x100, v6
	v_add_u32_e32 v9, 64, v9
	v_addc_co_u32_e32 v7, vcc, 0, v7, vcc
	v_cmp_le_i32_e32 vcc, s10, v9
	s_or_b64 s[14:15], vcc, s[14:15]
	s_waitcnt vmcnt(0)
	ds_add_f32 v8, v17
	v_add_u32_e32 v8, 0x100, v8
	s_andn2_b64 exec, exec, s[14:15]
	s_cbranch_execnz .LBB1_14
.LBB1_15:                               ;   in Loop: Header=BB1_12 Depth=2
	s_or_b64 exec, exec, s[6:7]
	s_or_b32 s23, s22, 8
	v_add_u32_e32 v6, s23, v13
	v_cmp_gt_i32_e32 vcc, s8, v6
	s_and_b64 s[14:15], vcc, s[4:5]
	s_and_saveexec_b64 s[6:7], s[14:15]
	s_cbranch_execz .LBB1_11
; %bb.16:                               ;   in Loop: Header=BB1_12 Depth=2
	ds_read_b32 v9, v16 offset:32
	v_mad_u64_u32 v[6:7], s[14:15], s2, v14, v[3:4]
	v_ashrrev_i32_e32 v8, 31, v14
	v_mul_lo_u32 v16, s3, v14
	v_mul_lo_u32 v17, s2, v8
	s_waitcnt lgkmcnt(0)
	v_mad_u64_u32 v[8:9], s[14:15], s11, v9, v[5:6]
	s_mov_b64 s[14:15], 0
	v_add3_u32 v7, v16, v7, v17
	v_mov_b32_e32 v9, v0
.LBB1_17:                               ;   Parent Loop BB1_8 Depth=1
                                        ;     Parent Loop BB1_12 Depth=2
                                        ; =>    This Inner Loop Header: Depth=3
	global_load_dword v16, v[6:7], off
	v_add_co_u32_e32 v6, vcc, 0x100, v6
	v_add_u32_e32 v9, 64, v9
	v_addc_co_u32_e32 v7, vcc, 0, v7, vcc
	v_cmp_le_i32_e32 vcc, s10, v9
	s_or_b64 s[14:15], vcc, s[14:15]
	s_waitcnt vmcnt(0)
	ds_add_f32 v8, v16
	v_add_u32_e32 v8, 0x100, v8
	s_andn2_b64 exec, exec, s[14:15]
	s_cbranch_execnz .LBB1_17
	s_branch .LBB1_11
.LBB1_18:
	s_and_saveexec_b64 s[2:3], s[0:1]
	s_cbranch_execz .LBB1_23
; %bb.19:
	s_mov_b64 s[0:1], 0
	v_mov_b32_e32 v3, 0
	v_mov_b32_e32 v6, s17
.LBB1_20:                               ; =>This Loop Header: Depth=1
                                        ;     Child Loop BB1_21 Depth 2
	v_lshlrev_b64 v[0:1], 2, v[2:3]
	v_lshl_add_u32 v4, v2, 2, 0
	v_add_co_u32_e32 v0, vcc, s16, v0
	v_addc_co_u32_e32 v1, vcc, v6, v1, vcc
	global_load_dword v5, v[0:1], off
	ds_read_b32 v7, v4
	s_mov_b64 s[2:3], 0
.LBB1_21:                               ;   Parent Loop BB1_20 Depth=1
                                        ; =>  This Inner Loop Header: Depth=2
	s_waitcnt vmcnt(0) lgkmcnt(0)
	v_add_f32_e32 v4, v5, v7
	global_atomic_cmpswap v4, v[0:1], v[4:5], off glc
	s_waitcnt vmcnt(0)
	v_cmp_eq_u32_e32 vcc, v4, v5
	s_or_b64 s[2:3], vcc, s[2:3]
	v_mov_b32_e32 v5, v4
	s_andn2_b64 exec, exec, s[2:3]
	s_cbranch_execnz .LBB1_21
; %bb.22:                               ;   in Loop: Header=BB1_20 Depth=1
	s_or_b64 exec, exec, s[2:3]
	v_add_u32_e32 v2, 0x200, v2
	v_cmp_le_i32_e32 vcc, s9, v2
	s_or_b64 s[0:1], vcc, s[0:1]
	s_andn2_b64 exec, exec, s[0:1]
	s_cbranch_execnz .LBB1_20
.LBB1_23:
	s_endpgm
	.section	.rodata,"a",@progbits
	.p2align	6, 0x0
	.amdhsa_kernel _Z18scatterAdd2_kernelPKiPKfPfiii
		.amdhsa_group_segment_fixed_size 0
		.amdhsa_private_segment_fixed_size 0
		.amdhsa_kernarg_size 36
		.amdhsa_user_sgpr_count 6
		.amdhsa_user_sgpr_private_segment_buffer 1
		.amdhsa_user_sgpr_dispatch_ptr 0
		.amdhsa_user_sgpr_queue_ptr 0
		.amdhsa_user_sgpr_kernarg_segment_ptr 1
		.amdhsa_user_sgpr_dispatch_id 0
		.amdhsa_user_sgpr_flat_scratch_init 0
		.amdhsa_user_sgpr_private_segment_size 0
		.amdhsa_uses_dynamic_stack 0
		.amdhsa_system_sgpr_private_segment_wavefront_offset 0
		.amdhsa_system_sgpr_workgroup_id_x 1
		.amdhsa_system_sgpr_workgroup_id_y 0
		.amdhsa_system_sgpr_workgroup_id_z 0
		.amdhsa_system_sgpr_workgroup_info 0
		.amdhsa_system_vgpr_workitem_id 1
		.amdhsa_next_free_vgpr 19
		.amdhsa_next_free_sgpr 24
		.amdhsa_reserve_vcc 1
		.amdhsa_reserve_flat_scratch 0
		.amdhsa_float_round_mode_32 0
		.amdhsa_float_round_mode_16_64 0
		.amdhsa_float_denorm_mode_32 3
		.amdhsa_float_denorm_mode_16_64 3
		.amdhsa_dx10_clamp 1
		.amdhsa_ieee_mode 1
		.amdhsa_fp16_overflow 0
		.amdhsa_exception_fp_ieee_invalid_op 0
		.amdhsa_exception_fp_denorm_src 0
		.amdhsa_exception_fp_ieee_div_zero 0
		.amdhsa_exception_fp_ieee_overflow 0
		.amdhsa_exception_fp_ieee_underflow 0
		.amdhsa_exception_fp_ieee_inexact 0
		.amdhsa_exception_int_div_zero 0
	.end_amdhsa_kernel
	.text
.Lfunc_end1:
	.size	_Z18scatterAdd2_kernelPKiPKfPfiii, .Lfunc_end1-_Z18scatterAdd2_kernelPKiPKfPfiii
                                        ; -- End function
	.set _Z18scatterAdd2_kernelPKiPKfPfiii.num_vgpr, 19
	.set _Z18scatterAdd2_kernelPKiPKfPfiii.num_agpr, 0
	.set _Z18scatterAdd2_kernelPKiPKfPfiii.numbered_sgpr, 24
	.set _Z18scatterAdd2_kernelPKiPKfPfiii.num_named_barrier, 0
	.set _Z18scatterAdd2_kernelPKiPKfPfiii.private_seg_size, 0
	.set _Z18scatterAdd2_kernelPKiPKfPfiii.uses_vcc, 1
	.set _Z18scatterAdd2_kernelPKiPKfPfiii.uses_flat_scratch, 0
	.set _Z18scatterAdd2_kernelPKiPKfPfiii.has_dyn_sized_stack, 0
	.set _Z18scatterAdd2_kernelPKiPKfPfiii.has_recursion, 0
	.set _Z18scatterAdd2_kernelPKiPKfPfiii.has_indirect_call, 0
	.section	.AMDGPU.csdata,"",@progbits
; Kernel info:
; codeLenInByte = 848
; TotalNumSgprs: 28
; NumVgprs: 19
; ScratchSize: 0
; MemoryBound: 0
; FloatMode: 240
; IeeeMode: 1
; LDSByteSize: 0 bytes/workgroup (compile time only)
; SGPRBlocks: 3
; VGPRBlocks: 4
; NumSGPRsForWavesPerEU: 28
; NumVGPRsForWavesPerEU: 19
; Occupancy: 10
; WaveLimiterHint : 0
; COMPUTE_PGM_RSRC2:SCRATCH_EN: 0
; COMPUTE_PGM_RSRC2:USER_SGPR: 6
; COMPUTE_PGM_RSRC2:TRAP_HANDLER: 0
; COMPUTE_PGM_RSRC2:TGID_X_EN: 1
; COMPUTE_PGM_RSRC2:TGID_Y_EN: 0
; COMPUTE_PGM_RSRC2:TGID_Z_EN: 0
; COMPUTE_PGM_RSRC2:TIDIG_COMP_CNT: 1
	.section	.AMDGPU.gpr_maximums,"",@progbits
	.set amdgpu.max_num_vgpr, 0
	.set amdgpu.max_num_agpr, 0
	.set amdgpu.max_num_sgpr, 0
	.section	.AMDGPU.csdata,"",@progbits
	.type	__hip_cuid_6de5543dc5e9c777,@object ; @__hip_cuid_6de5543dc5e9c777
	.section	.bss,"aw",@nobits
	.globl	__hip_cuid_6de5543dc5e9c777
__hip_cuid_6de5543dc5e9c777:
	.byte	0                               ; 0x0
	.size	__hip_cuid_6de5543dc5e9c777, 1

	.ident	"AMD clang version 22.0.0git (https://github.com/RadeonOpenCompute/llvm-project roc-7.2.4 26084 f58b06dce1f9c15707c5f808fd002e18c2accf7e)"
	.section	".note.GNU-stack","",@progbits
	.addrsig
	.addrsig_sym buffer
	.addrsig_sym __hip_cuid_6de5543dc5e9c777
	.amdgpu_metadata
---
amdhsa.kernels:
  - .args:
      - .address_space:  global
        .offset:         0
        .size:           8
        .value_kind:     global_buffer
      - .address_space:  global
        .offset:         8
        .size:           8
        .value_kind:     global_buffer
      - .address_space:  global
        .offset:         16
        .size:           8
        .value_kind:     global_buffer
      - .offset:         24
        .size:           4
        .value_kind:     by_value
      - .offset:         28
        .size:           4
        .value_kind:     by_value
      - .offset:         32
        .size:           4
        .value_kind:     by_value
    .group_segment_fixed_size: 0
    .kernarg_segment_align: 8
    .kernarg_segment_size: 36
    .language:       OpenCL C
    .language_version:
      - 2
      - 0
    .max_flat_workgroup_size: 1024
    .name:           _Z17scatterAdd_kernelPKiPKfPfiii
    .private_segment_fixed_size: 0
    .sgpr_count:     29
    .sgpr_spill_count: 0
    .symbol:         _Z17scatterAdd_kernelPKiPKfPfiii.kd
    .uniform_work_group_size: 1
    .uses_dynamic_stack: false
    .vgpr_count:     13
    .vgpr_spill_count: 0
    .wavefront_size: 64
  - .args:
      - .address_space:  global
        .offset:         0
        .size:           8
        .value_kind:     global_buffer
      - .address_space:  global
        .offset:         8
        .size:           8
        .value_kind:     global_buffer
      - .address_space:  global
        .offset:         16
        .size:           8
        .value_kind:     global_buffer
      - .offset:         24
        .size:           4
        .value_kind:     by_value
      - .offset:         28
        .size:           4
        .value_kind:     by_value
      - .offset:         32
        .size:           4
        .value_kind:     by_value
    .group_segment_fixed_size: 0
    .kernarg_segment_align: 8
    .kernarg_segment_size: 36
    .language:       OpenCL C
    .language_version:
      - 2
      - 0
    .max_flat_workgroup_size: 1024
    .name:           _Z18scatterAdd2_kernelPKiPKfPfiii
    .private_segment_fixed_size: 0
    .sgpr_count:     28
    .sgpr_spill_count: 0
    .symbol:         _Z18scatterAdd2_kernelPKiPKfPfiii.kd
    .uniform_work_group_size: 1
    .uses_dynamic_stack: false
    .vgpr_count:     19
    .vgpr_spill_count: 0
    .wavefront_size: 64
amdhsa.target:   amdgcn-amd-amdhsa--gfx906
amdhsa.version:
  - 1
  - 2
...

	.end_amdgpu_metadata
